;; amdgpu-corpus repo=ROCm/rocFFT kind=compiled arch=gfx1201 opt=O3
	.text
	.amdgcn_target "amdgcn-amd-amdhsa--gfx1201"
	.amdhsa_code_object_version 6
	.protected	fft_rtc_back_len128_factors_16_8_wgs_256_tpt_16_halfLds_dp_op_CI_CI_sbrr_dirReg ; -- Begin function fft_rtc_back_len128_factors_16_8_wgs_256_tpt_16_halfLds_dp_op_CI_CI_sbrr_dirReg
	.globl	fft_rtc_back_len128_factors_16_8_wgs_256_tpt_16_halfLds_dp_op_CI_CI_sbrr_dirReg
	.p2align	8
	.type	fft_rtc_back_len128_factors_16_8_wgs_256_tpt_16_halfLds_dp_op_CI_CI_sbrr_dirReg,@function
fft_rtc_back_len128_factors_16_8_wgs_256_tpt_16_halfLds_dp_op_CI_CI_sbrr_dirReg: ; @fft_rtc_back_len128_factors_16_8_wgs_256_tpt_16_halfLds_dp_op_CI_CI_sbrr_dirReg
; %bb.0:
	s_clause 0x2
	s_load_b128 s[12:15], s[0:1], 0x18
	s_load_b128 s[8:11], s[0:1], 0x0
	;; [unrolled: 1-line block ×3, first 2 shown]
	v_lshrrev_b32_e32 v77, 4, v0
	v_dual_mov_b32 v1, 0 :: v_dual_mov_b32 v68, 0
	v_mov_b32_e32 v69, 0
	s_wait_kmcnt 0x0
	s_load_b64 s[18:19], s[12:13], 0x0
	s_load_b64 s[16:17], s[14:15], 0x0
	v_cmp_lt_u64_e64 s2, s[10:11], 2
	v_lshl_or_b32 v3, ttmp9, 4, v77
	v_mov_b32_e32 v4, v1
	s_delay_alu instid0(VALU_DEP_3)
	s_and_b32 vcc_lo, exec_lo, s2
	s_cbranch_vccnz .LBB0_8
; %bb.1:
	s_load_b64 s[2:3], s[0:1], 0x10
	v_mov_b32_e32 v68, 0
	v_mov_b32_e32 v69, 0
	s_delay_alu instid0(VALU_DEP_2)
	v_mov_b32_e32 v64, v68
	s_add_nc_u64 s[20:21], s[14:15], 8
	s_add_nc_u64 s[22:23], s[12:13], 8
	s_mov_b64 s[24:25], 1
	v_mov_b32_e32 v65, v69
	s_wait_kmcnt 0x0
	s_add_nc_u64 s[26:27], s[2:3], 8
	s_mov_b32 s3, 0
.LBB0_2:                                ; =>This Inner Loop Header: Depth=1
	s_load_b64 s[28:29], s[26:27], 0x0
                                        ; implicit-def: $vgpr66_vgpr67
	s_mov_b32 s2, exec_lo
	s_wait_kmcnt 0x0
	v_or_b32_e32 v2, s29, v4
	s_delay_alu instid0(VALU_DEP_1)
	v_cmpx_ne_u64_e32 0, v[1:2]
	s_wait_alu 0xfffe
	s_xor_b32 s30, exec_lo, s2
	s_cbranch_execz .LBB0_4
; %bb.3:                                ;   in Loop: Header=BB0_2 Depth=1
	s_cvt_f32_u32 s2, s28
	s_cvt_f32_u32 s31, s29
	s_sub_nc_u64 s[36:37], 0, s[28:29]
	s_wait_alu 0xfffe
	s_delay_alu instid0(SALU_CYCLE_1) | instskip(SKIP_1) | instid1(SALU_CYCLE_2)
	s_fmamk_f32 s2, s31, 0x4f800000, s2
	s_wait_alu 0xfffe
	v_s_rcp_f32 s2, s2
	s_delay_alu instid0(TRANS32_DEP_1) | instskip(SKIP_1) | instid1(SALU_CYCLE_2)
	s_mul_f32 s2, s2, 0x5f7ffffc
	s_wait_alu 0xfffe
	s_mul_f32 s31, s2, 0x2f800000
	s_wait_alu 0xfffe
	s_delay_alu instid0(SALU_CYCLE_2) | instskip(SKIP_1) | instid1(SALU_CYCLE_2)
	s_trunc_f32 s31, s31
	s_wait_alu 0xfffe
	s_fmamk_f32 s2, s31, 0xcf800000, s2
	s_cvt_u32_f32 s35, s31
	s_wait_alu 0xfffe
	s_delay_alu instid0(SALU_CYCLE_1) | instskip(SKIP_1) | instid1(SALU_CYCLE_2)
	s_cvt_u32_f32 s34, s2
	s_wait_alu 0xfffe
	s_mul_u64 s[38:39], s[36:37], s[34:35]
	s_wait_alu 0xfffe
	s_mul_hi_u32 s41, s34, s39
	s_mul_i32 s40, s34, s39
	s_mul_hi_u32 s2, s34, s38
	s_mul_i32 s33, s35, s38
	s_wait_alu 0xfffe
	s_add_nc_u64 s[40:41], s[2:3], s[40:41]
	s_mul_hi_u32 s31, s35, s38
	s_mul_hi_u32 s42, s35, s39
	s_add_co_u32 s2, s40, s33
	s_wait_alu 0xfffe
	s_add_co_ci_u32 s2, s41, s31
	s_mul_i32 s38, s35, s39
	s_add_co_ci_u32 s39, s42, 0
	s_wait_alu 0xfffe
	s_add_nc_u64 s[38:39], s[2:3], s[38:39]
	s_wait_alu 0xfffe
	v_add_co_u32 v2, s2, s34, s38
	s_delay_alu instid0(VALU_DEP_1) | instskip(SKIP_1) | instid1(VALU_DEP_1)
	s_cmp_lg_u32 s2, 0
	s_add_co_ci_u32 s35, s35, s39
	v_readfirstlane_b32 s34, v2
	s_wait_alu 0xfffe
	s_delay_alu instid0(VALU_DEP_1)
	s_mul_u64 s[36:37], s[36:37], s[34:35]
	s_wait_alu 0xfffe
	s_mul_hi_u32 s39, s34, s37
	s_mul_i32 s38, s34, s37
	s_mul_hi_u32 s2, s34, s36
	s_mul_i32 s33, s35, s36
	s_wait_alu 0xfffe
	s_add_nc_u64 s[38:39], s[2:3], s[38:39]
	s_mul_hi_u32 s31, s35, s36
	s_mul_hi_u32 s34, s35, s37
	s_wait_alu 0xfffe
	s_add_co_u32 s2, s38, s33
	s_add_co_ci_u32 s2, s39, s31
	s_mul_i32 s36, s35, s37
	s_add_co_ci_u32 s37, s34, 0
	s_wait_alu 0xfffe
	s_add_nc_u64 s[36:37], s[2:3], s[36:37]
	s_wait_alu 0xfffe
	v_add_co_u32 v2, s2, v2, s36
	s_delay_alu instid0(VALU_DEP_1) | instskip(SKIP_1) | instid1(VALU_DEP_1)
	s_cmp_lg_u32 s2, 0
	s_add_co_ci_u32 s2, s35, s37
	v_mul_hi_u32 v11, v3, v2
	s_wait_alu 0xfffe
	v_mad_co_u64_u32 v[5:6], null, v3, s2, 0
	v_mad_co_u64_u32 v[7:8], null, v4, v2, 0
	;; [unrolled: 1-line block ×3, first 2 shown]
	s_delay_alu instid0(VALU_DEP_3) | instskip(SKIP_1) | instid1(VALU_DEP_4)
	v_add_co_u32 v2, vcc_lo, v11, v5
	s_wait_alu 0xfffd
	v_add_co_ci_u32_e32 v5, vcc_lo, 0, v6, vcc_lo
	s_delay_alu instid0(VALU_DEP_2) | instskip(SKIP_1) | instid1(VALU_DEP_2)
	v_add_co_u32 v2, vcc_lo, v2, v7
	s_wait_alu 0xfffd
	v_add_co_ci_u32_e32 v2, vcc_lo, v5, v8, vcc_lo
	s_wait_alu 0xfffd
	v_add_co_ci_u32_e32 v5, vcc_lo, 0, v10, vcc_lo
	s_delay_alu instid0(VALU_DEP_2) | instskip(SKIP_1) | instid1(VALU_DEP_2)
	v_add_co_u32 v2, vcc_lo, v2, v9
	s_wait_alu 0xfffd
	v_add_co_ci_u32_e32 v7, vcc_lo, 0, v5, vcc_lo
	s_delay_alu instid0(VALU_DEP_2) | instskip(SKIP_1) | instid1(VALU_DEP_3)
	v_mul_lo_u32 v8, s29, v2
	v_mad_co_u64_u32 v[5:6], null, s28, v2, 0
	v_mul_lo_u32 v9, s28, v7
	s_delay_alu instid0(VALU_DEP_2) | instskip(NEXT) | instid1(VALU_DEP_2)
	v_sub_co_u32 v5, vcc_lo, v3, v5
	v_add3_u32 v6, v6, v9, v8
	s_delay_alu instid0(VALU_DEP_1) | instskip(SKIP_1) | instid1(VALU_DEP_1)
	v_sub_nc_u32_e32 v8, v4, v6
	s_wait_alu 0xfffd
	v_subrev_co_ci_u32_e64 v8, s2, s29, v8, vcc_lo
	v_add_co_u32 v9, s2, v2, 2
	s_wait_alu 0xf1ff
	v_add_co_ci_u32_e64 v10, s2, 0, v7, s2
	v_sub_co_u32 v11, s2, v5, s28
	v_sub_co_ci_u32_e32 v6, vcc_lo, v4, v6, vcc_lo
	s_wait_alu 0xf1ff
	v_subrev_co_ci_u32_e64 v8, s2, 0, v8, s2
	s_delay_alu instid0(VALU_DEP_3) | instskip(NEXT) | instid1(VALU_DEP_3)
	v_cmp_le_u32_e32 vcc_lo, s28, v11
	v_cmp_eq_u32_e64 s2, s29, v6
	s_wait_alu 0xfffd
	v_cndmask_b32_e64 v11, 0, -1, vcc_lo
	v_cmp_le_u32_e32 vcc_lo, s29, v8
	s_wait_alu 0xfffd
	v_cndmask_b32_e64 v12, 0, -1, vcc_lo
	v_cmp_le_u32_e32 vcc_lo, s28, v5
	;; [unrolled: 3-line block ×3, first 2 shown]
	s_wait_alu 0xfffd
	v_cndmask_b32_e64 v13, 0, -1, vcc_lo
	v_cmp_eq_u32_e32 vcc_lo, s29, v8
	s_wait_alu 0xf1ff
	s_delay_alu instid0(VALU_DEP_2)
	v_cndmask_b32_e64 v5, v13, v5, s2
	s_wait_alu 0xfffd
	v_cndmask_b32_e32 v8, v12, v11, vcc_lo
	v_add_co_u32 v11, vcc_lo, v2, 1
	s_wait_alu 0xfffd
	v_add_co_ci_u32_e32 v12, vcc_lo, 0, v7, vcc_lo
	s_delay_alu instid0(VALU_DEP_3) | instskip(SKIP_1) | instid1(VALU_DEP_2)
	v_cmp_ne_u32_e32 vcc_lo, 0, v8
	s_wait_alu 0xfffd
	v_cndmask_b32_e32 v6, v12, v10, vcc_lo
	v_cndmask_b32_e32 v8, v11, v9, vcc_lo
	v_cmp_ne_u32_e32 vcc_lo, 0, v5
	s_wait_alu 0xfffd
	s_delay_alu instid0(VALU_DEP_2)
	v_dual_cndmask_b32 v67, v7, v6 :: v_dual_cndmask_b32 v66, v2, v8
.LBB0_4:                                ;   in Loop: Header=BB0_2 Depth=1
	s_wait_alu 0xfffe
	s_and_not1_saveexec_b32 s2, s30
	s_cbranch_execz .LBB0_6
; %bb.5:                                ;   in Loop: Header=BB0_2 Depth=1
	v_cvt_f32_u32_e32 v2, s28
	s_sub_co_i32 s30, 0, s28
	v_mov_b32_e32 v67, v1
	s_delay_alu instid0(VALU_DEP_2) | instskip(NEXT) | instid1(TRANS32_DEP_1)
	v_rcp_iflag_f32_e32 v2, v2
	v_mul_f32_e32 v2, 0x4f7ffffe, v2
	s_delay_alu instid0(VALU_DEP_1) | instskip(SKIP_1) | instid1(VALU_DEP_1)
	v_cvt_u32_f32_e32 v2, v2
	s_wait_alu 0xfffe
	v_mul_lo_u32 v5, s30, v2
	s_delay_alu instid0(VALU_DEP_1) | instskip(NEXT) | instid1(VALU_DEP_1)
	v_mul_hi_u32 v5, v2, v5
	v_add_nc_u32_e32 v2, v2, v5
	s_delay_alu instid0(VALU_DEP_1) | instskip(NEXT) | instid1(VALU_DEP_1)
	v_mul_hi_u32 v2, v3, v2
	v_mul_lo_u32 v5, v2, s28
	v_add_nc_u32_e32 v6, 1, v2
	s_delay_alu instid0(VALU_DEP_2) | instskip(NEXT) | instid1(VALU_DEP_1)
	v_sub_nc_u32_e32 v5, v3, v5
	v_subrev_nc_u32_e32 v7, s28, v5
	v_cmp_le_u32_e32 vcc_lo, s28, v5
	s_wait_alu 0xfffd
	s_delay_alu instid0(VALU_DEP_2) | instskip(NEXT) | instid1(VALU_DEP_1)
	v_dual_cndmask_b32 v5, v5, v7 :: v_dual_cndmask_b32 v2, v2, v6
	v_cmp_le_u32_e32 vcc_lo, s28, v5
	s_delay_alu instid0(VALU_DEP_2) | instskip(SKIP_1) | instid1(VALU_DEP_1)
	v_add_nc_u32_e32 v6, 1, v2
	s_wait_alu 0xfffd
	v_cndmask_b32_e32 v66, v2, v6, vcc_lo
.LBB0_6:                                ;   in Loop: Header=BB0_2 Depth=1
	s_wait_alu 0xfffe
	s_or_b32 exec_lo, exec_lo, s2
	v_mul_lo_u32 v2, v67, s28
	s_delay_alu instid0(VALU_DEP_2)
	v_mul_lo_u32 v7, v66, s29
	s_load_b64 s[30:31], s[22:23], 0x0
	v_mad_co_u64_u32 v[5:6], null, v66, s28, 0
	s_load_b64 s[28:29], s[20:21], 0x0
	s_add_nc_u64 s[24:25], s[24:25], 1
	s_add_nc_u64 s[20:21], s[20:21], 8
	s_wait_alu 0xfffe
	v_cmp_ge_u64_e64 s2, s[24:25], s[10:11]
	s_add_nc_u64 s[22:23], s[22:23], 8
	s_add_nc_u64 s[26:27], s[26:27], 8
	v_add3_u32 v2, v6, v7, v2
	v_sub_co_u32 v3, vcc_lo, v3, v5
	s_wait_alu 0xfffd
	s_delay_alu instid0(VALU_DEP_2) | instskip(SKIP_2) | instid1(VALU_DEP_1)
	v_sub_co_ci_u32_e32 v2, vcc_lo, v4, v2, vcc_lo
	s_and_b32 vcc_lo, exec_lo, s2
	s_wait_kmcnt 0x0
	v_mul_lo_u32 v4, s30, v2
	v_mul_lo_u32 v5, s31, v3
	v_mad_co_u64_u32 v[68:69], null, s30, v3, v[68:69]
	v_mul_lo_u32 v2, s28, v2
	v_mul_lo_u32 v6, s29, v3
	v_mad_co_u64_u32 v[64:65], null, s28, v3, v[64:65]
	s_delay_alu instid0(VALU_DEP_4) | instskip(NEXT) | instid1(VALU_DEP_2)
	v_add3_u32 v69, v5, v69, v4
	v_add3_u32 v65, v6, v65, v2
	s_wait_alu 0xfffe
	s_cbranch_vccnz .LBB0_9
; %bb.7:                                ;   in Loop: Header=BB0_2 Depth=1
	v_dual_mov_b32 v3, v66 :: v_dual_mov_b32 v4, v67
	s_branch .LBB0_2
.LBB0_8:
	v_dual_mov_b32 v64, v68 :: v_dual_mov_b32 v65, v69
	s_delay_alu instid0(VALU_DEP_2)
	v_dual_mov_b32 v67, v4 :: v_dual_mov_b32 v66, v3
.LBB0_9:
	s_load_b64 s[0:1], s[0:1], 0x28
	s_lshl_b64 s[10:11], s[10:11], 3
	v_and_b32_e32 v76, 15, v0
	s_wait_alu 0xfffe
	s_add_nc_u64 s[2:3], s[14:15], s[10:11]
	v_mov_b32_e32 v78, 0
	s_load_b64 s[2:3], s[2:3], 0x0
                                        ; implicit-def: $vgpr22_vgpr23
                                        ; implicit-def: $vgpr14_vgpr15
                                        ; implicit-def: $vgpr18_vgpr19
                                        ; implicit-def: $vgpr6_vgpr7
                                        ; implicit-def: $vgpr30_vgpr31
                                        ; implicit-def: $vgpr26_vgpr27
                                        ; implicit-def: $vgpr34_vgpr35
                                        ; implicit-def: $vgpr10_vgpr11
                                        ; implicit-def: $vgpr46_vgpr47
                                        ; implicit-def: $vgpr54_vgpr55
                                        ; implicit-def: $vgpr38_vgpr39
                                        ; implicit-def: $vgpr62_vgpr63
                                        ; implicit-def: $vgpr50_vgpr51
                                        ; implicit-def: $vgpr58_vgpr59
                                        ; implicit-def: $vgpr42_vgpr43
                                        ; implicit-def: $vgpr2_vgpr3
	s_wait_kmcnt 0x0
	v_cmp_gt_u64_e32 vcc_lo, s[0:1], v[66:67]
	s_and_saveexec_b32 s14, vcc_lo
	s_cbranch_execz .LBB0_13
; %bb.10:
	s_mov_b32 s15, exec_lo
                                        ; implicit-def: $vgpr0_vgpr1
                                        ; implicit-def: $vgpr40_vgpr41
                                        ; implicit-def: $vgpr56_vgpr57
                                        ; implicit-def: $vgpr48_vgpr49
                                        ; implicit-def: $vgpr60_vgpr61
                                        ; implicit-def: $vgpr36_vgpr37
                                        ; implicit-def: $vgpr52_vgpr53
                                        ; implicit-def: $vgpr44_vgpr45
                                        ; implicit-def: $vgpr8_vgpr9
                                        ; implicit-def: $vgpr32_vgpr33
                                        ; implicit-def: $vgpr24_vgpr25
                                        ; implicit-def: $vgpr28_vgpr29
                                        ; implicit-def: $vgpr4_vgpr5
                                        ; implicit-def: $vgpr16_vgpr17
                                        ; implicit-def: $vgpr12_vgpr13
                                        ; implicit-def: $vgpr20_vgpr21
	v_cmpx_gt_u32_e32 8, v76
	s_cbranch_execz .LBB0_12
; %bb.11:
	s_add_nc_u64 s[0:1], s[12:13], s[10:11]
	v_or_b32_e32 v14, 8, v76
	s_load_b64 s[0:1], s[0:1], 0x0
	v_mad_co_u64_u32 v[0:1], null, s18, v76, 0
	v_or_b32_e32 v15, 16, v76
	v_or_b32_e32 v16, 24, v76
	v_mad_co_u64_u32 v[4:5], null, s18, v14, 0
	v_lshlrev_b64_e32 v[2:3], 4, v[68:69]
	v_or_b32_e32 v17, 32, v76
	v_mad_co_u64_u32 v[6:7], null, s18, v15, 0
	v_mad_co_u64_u32 v[8:9], null, s18, v16, 0
	s_delay_alu instid0(VALU_DEP_4) | instskip(NEXT) | instid1(VALU_DEP_4)
	v_mad_co_u64_u32 v[12:13], null, s19, v76, v[1:2]
	v_mad_co_u64_u32 v[24:25], null, s18, v17, 0
	v_mov_b32_e32 v1, v5
	v_or_b32_e32 v28, 48, v76
	v_mov_b32_e32 v5, v7
	s_wait_kmcnt 0x0
	v_mul_lo_u32 v18, s1, v66
	v_mul_lo_u32 v19, s0, v67
	v_mad_co_u64_u32 v[10:11], null, s0, v66, 0
	v_mad_co_u64_u32 v[13:14], null, s19, v14, v[1:2]
	;; [unrolled: 1-line block ×3, first 2 shown]
	v_mov_b32_e32 v7, v9
	v_or_b32_e32 v50, 0x60, v76
	v_add3_u32 v11, v11, v19, v18
	v_mov_b32_e32 v1, v12
	v_mad_co_u64_u32 v[14:15], null, s19, v15, v[5:6]
	s_delay_alu instid0(VALU_DEP_4) | instskip(NEXT) | instid1(VALU_DEP_4)
	v_mad_co_u64_u32 v[46:47], null, s18, v50, 0
	v_lshlrev_b64_e32 v[9:10], 4, v[10:11]
	v_mad_co_u64_u32 v[11:12], null, s19, v16, v[7:8]
	v_mov_b32_e32 v5, v13
	v_lshlrev_b64_e32 v[0:1], 4, v[0:1]
	v_mov_b32_e32 v7, v14
	v_add_co_u32 v9, s0, s4, v9
	s_wait_alu 0xf1ff
	v_add_co_ci_u32_e64 v10, s0, s5, v10, s0
	v_or_b32_e32 v15, 40, v76
	s_delay_alu instid0(VALU_DEP_3) | instskip(SKIP_1) | instid1(VALU_DEP_3)
	v_add_co_u32 v58, s0, v9, v2
	s_wait_alu 0xf1ff
	v_add_co_ci_u32_e64 v59, s0, v10, v3, s0
	v_lshlrev_b64_e32 v[2:3], 4, v[4:5]
	s_delay_alu instid0(VALU_DEP_3) | instskip(SKIP_3) | instid1(VALU_DEP_4)
	v_add_co_u32 v0, s0, v58, v0
	v_mov_b32_e32 v9, v11
	s_wait_alu 0xf1ff
	v_add_co_ci_u32_e64 v1, s0, v59, v1, s0
	v_add_co_u32 v4, s0, v58, v2
	s_wait_alu 0xf1ff
	v_add_co_ci_u32_e64 v5, s0, v59, v3, s0
	v_lshlrev_b64_e32 v[2:3], 4, v[6:7]
	v_lshlrev_b64_e32 v[7:8], 4, v[8:9]
	v_mov_b32_e32 v6, v25
	v_mad_co_u64_u32 v[10:11], null, s18, v15, 0
	v_or_b32_e32 v29, 56, v76
	v_or_b32_e32 v34, 64, v76
	s_delay_alu instid0(VALU_DEP_4)
	v_mad_co_u64_u32 v[12:13], null, s19, v17, v[6:7]
	v_add_co_u32 v13, s0, v58, v2
	s_wait_alu 0xf1ff
	v_add_co_ci_u32_e64 v14, s0, v59, v3, s0
	v_mov_b32_e32 v2, v11
	v_add_co_u32 v6, s0, v58, v7
	s_wait_alu 0xf1ff
	v_add_co_ci_u32_e64 v7, s0, v59, v8, s0
	v_mov_b32_e32 v25, v12
	v_mad_co_u64_u32 v[8:9], null, s19, v15, v[2:3]
	s_clause 0x3
	global_load_b128 v[0:3], v[0:1], off
	global_load_b128 v[20:23], v[4:5], off
	;; [unrolled: 1-line block ×4, first 2 shown]
	v_mov_b32_e32 v6, v27
	v_lshlrev_b64_e32 v[4:5], 4, v[24:25]
	v_mad_co_u64_u32 v[24:25], null, s18, v34, 0
	v_or_b32_e32 v35, 0x48, v76
	v_mov_b32_e32 v11, v8
	v_mad_co_u64_u32 v[8:9], null, s18, v29, 0
	v_mad_co_u64_u32 v[6:7], null, s19, v28, v[6:7]
	s_delay_alu instid0(VALU_DEP_3) | instskip(SKIP_4) | instid1(VALU_DEP_4)
	v_lshlrev_b64_e32 v[10:11], 4, v[10:11]
	v_add_co_u32 v4, s0, v58, v4
	s_wait_alu 0xf1ff
	v_add_co_ci_u32_e64 v5, s0, v59, v5, s0
	v_mov_b32_e32 v7, v9
	v_add_co_u32 v9, s0, v58, v10
	s_wait_alu 0xf1ff
	v_add_co_ci_u32_e64 v10, s0, v59, v11, s0
	s_delay_alu instid0(VALU_DEP_3)
	v_mad_co_u64_u32 v[32:33], null, s19, v29, v[7:8]
	v_mad_co_u64_u32 v[36:37], null, s18, v35, 0
	v_mov_b32_e32 v11, v25
	v_mov_b32_e32 v27, v6
	s_clause 0x1
	global_load_b128 v[4:7], v[4:5], off
	global_load_b128 v[28:31], v[9:10], off
	v_or_b32_e32 v40, 0x58, v76
	v_mov_b32_e32 v9, v32
	v_or_b32_e32 v52, 0x68, v76
	v_lshlrev_b64_e32 v[25:26], 4, v[26:27]
	v_or_b32_e32 v55, 0x70, v76
	v_or_b32_e32 v56, 0x78, v76
	v_lshlrev_b64_e32 v[8:9], 4, v[8:9]
	v_mad_co_u64_u32 v[48:49], null, s18, v52, 0
	v_add_co_u32 v32, s0, v58, v25
	s_wait_alu 0xf1ff
	v_add_co_ci_u32_e64 v33, s0, v59, v26, s0
	s_delay_alu instid0(VALU_DEP_4)
	v_add_co_u32 v8, s0, v58, v8
	s_wait_alu 0xf1ff
	v_add_co_ci_u32_e64 v9, s0, v59, v9, s0
	s_wait_loadcnt 0x3
	v_mad_co_u64_u32 v[10:11], null, s19, v34, v[11:12]
	v_mov_b32_e32 v11, v37
	s_delay_alu instid0(VALU_DEP_2) | instskip(NEXT) | instid1(VALU_DEP_2)
	v_mov_b32_e32 v25, v10
	v_mad_co_u64_u32 v[10:11], null, s19, v35, v[11:12]
	v_or_b32_e32 v11, 0x50, v76
	s_delay_alu instid0(VALU_DEP_3)
	v_lshlrev_b64_e32 v[38:39], 4, v[24:25]
	s_clause 0x1
	global_load_b128 v[24:27], v[32:33], off
	global_load_b128 v[32:35], v[8:9], off
	v_mad_co_u64_u32 v[44:45], null, s18, v11, 0
	v_mov_b32_e32 v37, v10
	v_add_co_u32 v8, s0, v58, v38
	s_wait_alu 0xf1ff
	v_add_co_ci_u32_e64 v9, s0, v59, v39, s0
	v_mad_co_u64_u32 v[38:39], null, s18, v40, 0
	v_mov_b32_e32 v10, v45
	v_lshlrev_b64_e32 v[36:37], 4, v[36:37]
	s_delay_alu instid0(VALU_DEP_2) | instskip(NEXT) | instid1(VALU_DEP_2)
	v_mad_co_u64_u32 v[10:11], null, s19, v11, v[10:11]
	v_add_co_u32 v36, s0, v58, v36
	v_mov_b32_e32 v11, v39
	s_wait_alu 0xf1ff
	s_delay_alu instid0(VALU_DEP_4) | instskip(NEXT) | instid1(VALU_DEP_4)
	v_add_co_ci_u32_e64 v37, s0, v59, v37, s0
	v_mov_b32_e32 v45, v10
	s_delay_alu instid0(VALU_DEP_3)
	v_mad_co_u64_u32 v[39:40], null, s19, v40, v[11:12]
	s_clause 0x1
	global_load_b128 v[8:11], v[8:9], off
	global_load_b128 v[40:43], v[36:37], off
	v_mov_b32_e32 v36, v47
	v_lshlrev_b64_e32 v[44:45], 4, v[44:45]
	s_delay_alu instid0(VALU_DEP_2) | instskip(SKIP_2) | instid1(VALU_DEP_4)
	v_mad_co_u64_u32 v[36:37], null, s19, v50, v[36:37]
	v_mad_co_u64_u32 v[50:51], null, s18, v55, 0
	v_mov_b32_e32 v37, v49
	v_add_co_u32 v44, s0, v58, v44
	s_wait_alu 0xf1ff
	v_add_co_ci_u32_e64 v45, s0, v59, v45, s0
	s_delay_alu instid0(VALU_DEP_3)
	v_mad_co_u64_u32 v[52:53], null, s19, v52, v[37:38]
	v_lshlrev_b64_e32 v[38:39], 4, v[38:39]
	v_mad_co_u64_u32 v[53:54], null, s18, v56, 0
	v_mov_b32_e32 v37, v51
	v_mov_b32_e32 v47, v36
	;; [unrolled: 1-line block ×3, first 2 shown]
	s_delay_alu instid0(VALU_DEP_3)
	v_mad_co_u64_u32 v[36:37], null, s19, v55, v[37:38]
	v_mov_b32_e32 v37, v54
	v_add_co_u32 v38, s0, v58, v38
	v_lshlrev_b64_e32 v[46:47], 4, v[46:47]
	s_wait_alu 0xf1ff
	v_add_co_ci_u32_e64 v39, s0, v59, v39, s0
	s_delay_alu instid0(VALU_DEP_3)
	v_mad_co_u64_u32 v[54:55], null, s19, v56, v[37:38]
	v_mov_b32_e32 v51, v36
	v_lshlrev_b64_e32 v[48:49], 4, v[48:49]
	v_add_co_u32 v36, s0, v58, v46
	s_wait_alu 0xf1ff
	v_add_co_ci_u32_e64 v37, s0, v59, v47, s0
	v_lshlrev_b64_e32 v[46:47], 4, v[50:51]
	s_delay_alu instid0(VALU_DEP_4) | instskip(SKIP_3) | instid1(VALU_DEP_4)
	v_add_co_u32 v48, s0, v58, v48
	v_lshlrev_b64_e32 v[50:51], 4, v[53:54]
	s_wait_alu 0xf1ff
	v_add_co_ci_u32_e64 v49, s0, v59, v49, s0
	v_add_co_u32 v56, s0, v58, v46
	s_wait_alu 0xf1ff
	v_add_co_ci_u32_e64 v57, s0, v59, v47, s0
	v_add_co_u32 v58, s0, v58, v50
	s_wait_alu 0xf1ff
	v_add_co_ci_u32_e64 v59, s0, v59, v51, s0
	s_clause 0x5
	global_load_b128 v[44:47], v[44:45], off
	global_load_b128 v[52:55], v[38:39], off
	;; [unrolled: 1-line block ×6, first 2 shown]
.LBB0_12:
	s_or_b32 exec_lo, exec_lo, s15
	v_mov_b32_e32 v78, v76
.LBB0_13:
	s_or_b32 exec_lo, exec_lo, s14
	s_wait_loadcnt 0x6
	v_add_f64_e64 v[40:41], v[20:21], -v[40:41]
	v_add_f64_e64 v[42:43], v[22:23], -v[42:43]
	s_wait_loadcnt 0x2
	v_add_f64_e64 v[60:61], v[28:29], -v[60:61]
	v_add_f64_e64 v[62:63], v[30:31], -v[62:63]
	;; [unrolled: 1-line block ×4, first 2 shown]
	s_wait_loadcnt 0x0
	v_add_f64_e64 v[58:59], v[34:35], -v[58:59]
	v_add_f64_e64 v[56:57], v[32:33], -v[56:57]
	;; [unrolled: 1-line block ×3, first 2 shown]
	s_mov_b32 s0, 0x667f3bcd
	s_mov_b32 s1, 0x3fe6a09e
	;; [unrolled: 1-line block ×3, first 2 shown]
	s_wait_alu 0xfffe
	s_mov_b32 s4, s0
	v_fma_f64 v[20:21], v[20:21], 2.0, -v[40:41]
	v_fma_f64 v[22:23], v[22:23], 2.0, -v[42:43]
	v_fma_f64 v[28:29], v[28:29], 2.0, -v[60:61]
	v_fma_f64 v[30:31], v[30:31], 2.0, -v[62:63]
	v_fma_f64 v[68:69], v[16:17], 2.0, -v[52:53]
	v_fma_f64 v[18:19], v[18:19], 2.0, -v[54:55]
	v_add_f64_e32 v[79:80], v[62:63], v[40:41]
	v_add_f64_e64 v[81:82], v[42:43], -v[60:61]
	v_add_f64_e32 v[60:61], v[52:53], v[58:59]
	v_add_f64_e64 v[62:63], v[54:55], -v[56:57]
	v_fma_f64 v[16:17], v[34:35], 2.0, -v[58:59]
	v_fma_f64 v[32:33], v[32:33], 2.0, -v[56:57]
	v_add_f64_e64 v[34:35], v[12:13], -v[44:45]
	v_add_f64_e64 v[44:45], v[14:15], -v[46:47]
	v_add_f64_e64 v[46:47], v[26:27], -v[50:51]
	v_add_f64_e64 v[50:51], v[20:21], -v[28:29]
	v_add_f64_e64 v[30:31], v[22:23], -v[30:31]
	v_fma_f64 v[83:84], v[40:41], 2.0, -v[79:80]
	v_fma_f64 v[85:86], v[42:43], 2.0, -v[81:82]
	;; [unrolled: 1-line block ×4, first 2 shown]
	v_add_f64_e64 v[52:53], v[18:19], -v[16:17]
	v_add_f64_e64 v[32:33], v[68:69], -v[32:33]
	v_fma_f64 v[56:57], v[60:61], s[0:1], v[79:80]
	v_add_f64_e64 v[87:88], v[44:45], -v[48:49]
	v_add_f64_e32 v[70:71], v[34:35], v[46:47]
	v_fma_f64 v[58:59], v[62:63], s[0:1], v[81:82]
	v_fma_f64 v[16:17], v[12:13], 2.0, -v[34:35]
	v_fma_f64 v[54:55], v[14:15], 2.0, -v[44:45]
	;; [unrolled: 1-line block ×6, first 2 shown]
	s_wait_alu 0xfffe
	v_fma_f64 v[72:73], v[42:43], s[4:5], v[83:84]
	v_fma_f64 v[74:75], v[28:29], s[4:5], v[85:86]
	v_add_f64_e32 v[89:90], v[52:53], v[50:51]
	v_add_f64_e64 v[91:92], v[30:31], -v[32:33]
	v_fma_f64 v[20:21], v[68:69], 2.0, -v[32:33]
	v_fma_f64 v[44:45], v[44:45], 2.0, -v[87:88]
	;; [unrolled: 1-line block ×4, first 2 shown]
	v_fma_f64 v[24:25], v[62:63], s[0:1], v[56:57]
	v_fma_f64 v[26:27], v[60:61], s[4:5], v[58:59]
	v_add_f64_e64 v[56:57], v[16:17], -v[14:15]
	v_add_f64_e64 v[58:59], v[54:55], -v[46:47]
	v_mul_f64_e32 v[62:63], s[0:1], v[70:71]
	v_mul_f64_e32 v[70:71], s[0:1], v[87:88]
	v_lshlrev_b32_e32 v14, 7, v77
	s_delay_alu instid0(VALU_DEP_1)
	v_lshlrev_b32_e32 v77, 3, v14
	v_fma_f64 v[28:29], v[28:29], s[0:1], v[72:73]
	v_fma_f64 v[42:43], v[42:43], s[4:5], v[74:75]
	v_fma_f64 v[22:23], v[50:51], 2.0, -v[89:90]
	v_fma_f64 v[50:51], v[30:31], 2.0, -v[91:92]
	v_add_f64_e64 v[72:73], v[4:5], -v[36:37]
	v_add_f64_e64 v[74:75], v[6:7], -v[38:39]
	v_mul_f64_e32 v[60:61], s[0:1], v[34:35]
	v_mul_f64_e32 v[68:69], s[0:1], v[44:45]
	v_add_f64_e64 v[30:31], v[12:13], -v[20:21]
	v_add_f64_e64 v[48:49], v[40:41], -v[18:19]
	v_fma_f64 v[38:39], v[79:80], 2.0, -v[24:25]
	v_fma_f64 v[52:53], v[81:82], 2.0, -v[26:27]
	v_mul_f64_e32 v[34:35], s[0:1], v[89:90]
	v_fma_f64 v[32:33], v[83:84], 2.0, -v[28:29]
	v_fma_f64 v[44:45], v[85:86], 2.0, -v[42:43]
	v_mul_f64_e32 v[36:37], s[0:1], v[22:23]
	v_mul_f64_e32 v[46:47], s[0:1], v[50:51]
	v_mul_f64_e32 v[50:51], s[0:1], v[91:92]
	v_cmp_gt_u32_e64 s0, 8, v76
	s_delay_alu instid0(VALU_DEP_1)
	s_and_saveexec_b32 s1, s0
	s_cbranch_execz .LBB0_15
; %bb.14:
	v_add_f64_e64 v[8:9], v[0:1], -v[8:9]
	v_fma_f64 v[4:5], v[4:5], 2.0, -v[72:73]
	s_mov_b32 s4, 0xa6aea964
	s_mov_b32 s5, 0x3fd87de2
	s_mov_b32 s11, 0xbfd87de2
	s_wait_alu 0xfffe
	s_mov_b32 s10, s4
	v_fma_f64 v[12:13], v[12:13], 2.0, -v[30:31]
	s_delay_alu instid0(VALU_DEP_3) | instskip(SKIP_1) | instid1(VALU_DEP_2)
	v_add_f64_e32 v[14:15], v[74:75], v[8:9]
	v_fma_f64 v[0:1], v[0:1], 2.0, -v[8:9]
	v_fma_f64 v[18:19], v[8:9], 2.0, -v[14:15]
	v_add_f64_e32 v[20:21], v[62:63], v[14:15]
	s_delay_alu instid0(VALU_DEP_3) | instskip(NEXT) | instid1(VALU_DEP_3)
	v_add_f64_e64 v[4:5], v[0:1], -v[4:5]
	v_add_f64_e64 v[8:9], v[18:19], -v[60:61]
	s_delay_alu instid0(VALU_DEP_3) | instskip(NEXT) | instid1(VALU_DEP_3)
	v_add_f64_e32 v[87:88], v[70:71], v[20:21]
	v_fma_f64 v[0:1], v[0:1], 2.0, -v[4:5]
	v_add_f64_e32 v[91:92], v[58:59], v[4:5]
	s_delay_alu instid0(VALU_DEP_4) | instskip(NEXT) | instid1(VALU_DEP_4)
	v_add_f64_e32 v[8:9], v[68:69], v[8:9]
	v_fma_f64 v[95:96], v[14:15], 2.0, -v[87:88]
	v_fma_f64 v[14:15], v[16:17], 2.0, -v[56:57]
	s_delay_alu instid0(VALU_DEP_4)
	v_fma_f64 v[4:5], v[4:5], 2.0, -v[91:92]
	v_add_f64_e32 v[79:80], v[34:35], v[91:92]
	v_fma_f64 v[16:17], v[28:29], s[4:5], v[8:9]
	s_wait_alu 0xfffe
	v_fma_f64 v[20:21], v[38:39], s[10:11], v[95:96]
	v_fma_f64 v[93:94], v[18:19], 2.0, -v[8:9]
	v_add_f64_e64 v[83:84], v[0:1], -v[14:15]
	s_mov_b32 s11, 0x3fed906b
	s_mov_b32 s10, 0xcf328d46
	s_wait_alu 0xfffe
	v_fma_f64 v[22:23], v[24:25], s[10:11], v[87:88]
	v_fma_f64 v[14:15], v[42:43], s[10:11], v[16:17]
	;; [unrolled: 1-line block ×3, first 2 shown]
	s_mov_b32 s11, 0xbfed906b
	s_delay_alu instid0(VALU_DEP_4)
	v_fma_f64 v[0:1], v[0:1], 2.0, -v[83:84]
	s_wait_alu 0xfffe
	v_fma_f64 v[16:17], v[32:33], s[10:11], v[93:94]
	v_add_f64_e32 v[20:21], v[50:51], v[79:80]
	v_fma_f64 v[22:23], v[26:27], s[4:5], v[22:23]
	v_fma_f64 v[85:86], v[8:9], 2.0, -v[14:15]
	v_fma_f64 v[97:98], v[95:96], 2.0, -v[18:19]
	v_add_f64_e64 v[79:80], v[0:1], -v[12:13]
	v_fma_f64 v[81:82], v[44:45], s[4:5], v[16:17]
	v_add_f64_e64 v[16:17], v[4:5], -v[36:37]
	v_add_f64_e32 v[12:13], v[48:49], v[83:84]
	v_fma_f64 v[89:90], v[87:88], 2.0, -v[22:23]
	v_fma_f64 v[87:88], v[91:92], 2.0, -v[20:21]
	;; [unrolled: 1-line block ×4, first 2 shown]
	v_add_f64_e32 v[16:17], v[46:47], v[16:17]
	v_fma_f64 v[83:84], v[83:84], 2.0, -v[12:13]
	v_lshlrev_b32_e32 v0, 7, v76
	s_delay_alu instid0(VALU_DEP_1) | instskip(NEXT) | instid1(VALU_DEP_4)
	v_add3_u32 v0, 0, v0, v77
	v_fma_f64 v[95:96], v[4:5], 2.0, -v[16:17]
	ds_store_b128 v0, v[83:86] offset:32
	ds_store_b128 v0, v[87:90] offset:48
	;; [unrolled: 1-line block ×4, first 2 shown]
	ds_store_b128 v0, v[91:94]
	ds_store_b128 v0, v[95:98] offset:16
	ds_store_b128 v0, v[12:15] offset:96
	;; [unrolled: 1-line block ×3, first 2 shown]
.LBB0_15:
	s_wait_alu 0xfffe
	s_or_b32 exec_lo, exec_lo, s1
	v_lshlrev_b32_e32 v0, 3, v76
	global_wb scope:SCOPE_SE
	s_wait_dscnt 0x0
	s_barrier_signal -1
	s_barrier_wait -1
	global_inv scope:SCOPE_SE
	v_add_nc_u32_e32 v79, 0, v0
	v_add3_u32 v8, 0, v77, v0
	s_delay_alu instid0(VALU_DEP_2)
	v_add_nc_u32_e32 v9, v79, v77
	ds_load_2addr_b64 v[16:19], v9 offset0:16 offset1:32
	ds_load_2addr_b64 v[12:15], v9 offset0:48 offset1:64
	;; [unrolled: 1-line block ×3, first 2 shown]
	ds_load_b64 v[0:1], v8
	ds_load_b64 v[4:5], v9 offset:896
	global_wb scope:SCOPE_SE
	s_wait_dscnt 0x0
	s_barrier_signal -1
	s_barrier_wait -1
	global_inv scope:SCOPE_SE
	s_and_saveexec_b32 s1, s0
	s_cbranch_execz .LBB0_17
; %bb.16:
	v_add_f64_e64 v[10:11], v[2:3], -v[10:11]
	v_fma_f64 v[6:7], v[6:7], 2.0, -v[74:75]
	v_fma_f64 v[54:55], v[54:55], 2.0, -v[58:59]
	s_mov_b32 s4, 0xa6aea964
	s_mov_b32 s5, 0xbfd87de2
	;; [unrolled: 1-line block ×3, first 2 shown]
	s_wait_alu 0xfffe
	s_mov_b32 s10, s4
	v_fma_f64 v[40:41], v[40:41], 2.0, -v[48:49]
	s_delay_alu instid0(VALU_DEP_4) | instskip(SKIP_1) | instid1(VALU_DEP_2)
	v_add_f64_e64 v[72:73], v[10:11], -v[72:73]
	v_fma_f64 v[2:3], v[2:3], 2.0, -v[10:11]
	v_fma_f64 v[10:11], v[10:11], 2.0, -v[72:73]
	v_add_f64_e32 v[70:71], v[70:71], v[72:73]
	s_delay_alu instid0(VALU_DEP_3) | instskip(NEXT) | instid1(VALU_DEP_3)
	v_add_f64_e64 v[6:7], v[2:3], -v[6:7]
	v_add_f64_e64 v[68:69], v[10:11], -v[68:69]
	s_delay_alu instid0(VALU_DEP_3) | instskip(NEXT) | instid1(VALU_DEP_3)
	v_add_f64_e64 v[62:63], v[70:71], -v[62:63]
	v_fma_f64 v[2:3], v[2:3], 2.0, -v[6:7]
	v_add_f64_e64 v[56:57], v[6:7], -v[56:57]
	s_delay_alu instid0(VALU_DEP_4) | instskip(NEXT) | instid1(VALU_DEP_4)
	v_add_f64_e64 v[60:61], v[68:69], -v[60:61]
	v_fma_f64 v[58:59], v[72:73], 2.0, -v[62:63]
	s_delay_alu instid0(VALU_DEP_4) | instskip(NEXT) | instid1(VALU_DEP_4)
	v_add_f64_e64 v[54:55], v[2:3], -v[54:55]
	v_fma_f64 v[6:7], v[6:7], 2.0, -v[56:57]
	v_add_f64_e32 v[48:49], v[50:51], v[56:57]
	v_fma_f64 v[10:11], v[10:11], 2.0, -v[60:61]
	v_fma_f64 v[52:53], v[52:53], s[4:5], v[58:59]
	s_wait_alu 0xfffe
	v_fma_f64 v[42:43], v[42:43], s[10:11], v[60:61]
	s_mov_b32 s11, 0xbfed906b
	s_mov_b32 s10, 0xcf328d46
	v_fma_f64 v[2:3], v[2:3], 2.0, -v[54:55]
	v_add_f64_e64 v[46:47], v[6:7], -v[46:47]
	s_wait_alu 0xfffe
	v_fma_f64 v[44:45], v[44:45], s[10:11], v[10:11]
	v_fma_f64 v[38:39], v[38:39], s[10:11], v[52:53]
	;; [unrolled: 1-line block ×3, first 2 shown]
	s_mov_b32 s11, 0x3fed906b
	s_wait_alu 0xfffe
	v_fma_f64 v[50:51], v[26:27], s[10:11], v[62:63]
	v_add_f64_e64 v[26:27], v[54:55], -v[30:31]
	v_add_f64_e64 v[40:41], v[2:3], -v[40:41]
	;; [unrolled: 1-line block ×4, first 2 shown]
	v_fma_f64 v[42:43], v[32:33], s[4:5], v[44:45]
	v_fma_f64 v[58:59], v[58:59], 2.0, -v[38:39]
	v_fma_f64 v[46:47], v[60:61], 2.0, -v[28:29]
	v_fma_f64 v[32:33], v[24:25], s[4:5], v[50:51]
	v_fma_f64 v[44:45], v[54:55], 2.0, -v[26:27]
	v_fma_f64 v[52:53], v[2:3], 2.0, -v[40:41]
	;; [unrolled: 1-line block ×4, first 2 shown]
	v_mul_u32_u24_e32 v2, 0x78, v76
	s_delay_alu instid0(VALU_DEP_1)
	v_add3_u32 v2, v79, v2, v77
	v_fma_f64 v[54:55], v[10:11], 2.0, -v[42:43]
	v_fma_f64 v[50:51], v[62:63], 2.0, -v[32:33]
	ds_store_b128 v2, v[40:43] offset:64
	ds_store_b128 v2, v[36:39] offset:80
	ds_store_b128 v2, v[52:55]
	ds_store_b128 v2, v[56:59] offset:16
	ds_store_b128 v2, v[44:47] offset:32
	;; [unrolled: 1-line block ×5, first 2 shown]
.LBB0_17:
	s_wait_alu 0xfffe
	s_or_b32 exec_lo, exec_lo, s1
	global_wb scope:SCOPE_SE
	s_wait_dscnt 0x0
	s_barrier_signal -1
	s_barrier_wait -1
	global_inv scope:SCOPE_SE
	s_and_saveexec_b32 s0, vcc_lo
	s_cbranch_execz .LBB0_19
; %bb.18:
	v_mul_u32_u24_e32 v2, 7, v76
	s_mov_b32 s0, 0x667f3bcd
	s_mov_b32 s1, 0x3fe6a09e
	s_delay_alu instid0(VALU_DEP_1)
	v_lshlrev_b32_e32 v2, 4, v2
	s_clause 0x6
	global_load_b128 v[24:27], v2, s[8:9] offset:48
	global_load_b128 v[28:31], v2, s[8:9] offset:16
	;; [unrolled: 1-line block ×3, first 2 shown]
	global_load_b128 v[36:39], v2, s[8:9]
	global_load_b128 v[40:43], v2, s[8:9] offset:64
	global_load_b128 v[44:47], v2, s[8:9] offset:32
	;; [unrolled: 1-line block ×3, first 2 shown]
	ds_load_2addr_b64 v[52:55], v9 offset0:16 offset1:32
	ds_load_2addr_b64 v[56:59], v9 offset0:80 offset1:96
	ds_load_2addr_b64 v[60:63], v9 offset0:48 offset1:64
	ds_load_b64 v[76:77], v9 offset:896
	s_wait_loadcnt 0x6
	v_mul_f64_e32 v[2:3], v[14:15], v[26:27]
	s_wait_loadcnt 0x5
	v_mul_f64_e32 v[6:7], v[18:19], v[28:29]
	;; [unrolled: 2-line block ×7, first 2 shown]
	s_wait_dscnt 0x3
	v_mul_f64_e32 v[38:39], v[52:53], v[38:39]
	s_wait_dscnt 0x2
	v_mul_f64_e32 v[42:43], v[56:57], v[42:43]
	v_mul_f64_e32 v[12:13], v[12:13], v[46:47]
	;; [unrolled: 1-line block ×5, first 2 shown]
	s_wait_dscnt 0x1
	v_mul_f64_e32 v[26:27], v[62:63], v[26:27]
	v_fma_f64 v[2:3], v[62:63], v[24:25], -v[2:3]
	v_fma_f64 v[6:7], v[54:55], v[30:31], v[6:7]
	v_fma_f64 v[9:10], v[58:59], v[34:35], v[10:11]
	v_fma_f64 v[30:31], v[52:53], v[36:37], -v[68:69]
	v_fma_f64 v[34:35], v[56:57], v[40:41], -v[70:71]
	v_fma_f64 v[46:47], v[60:61], v[46:47], v[72:73]
	s_wait_dscnt 0x0
	v_fma_f64 v[50:51], v[76:77], v[50:51], v[74:75]
	v_fma_f64 v[16:17], v[16:17], v[36:37], v[38:39]
	;; [unrolled: 1-line block ×3, first 2 shown]
	v_fma_f64 v[11:12], v[60:61], v[44:45], -v[12:13]
	v_fma_f64 v[4:5], v[76:77], v[48:49], -v[4:5]
	;; [unrolled: 1-line block ×4, first 2 shown]
	v_fma_f64 v[13:14], v[14:15], v[24:25], v[26:27]
	ds_load_b64 v[24:25], v8
	v_mul_lo_u32 v62, s2, v67
	v_or_b32_e32 v68, 32, v78
	v_or_b32_e32 v69, 48, v78
	;; [unrolled: 1-line block ×5, first 2 shown]
	v_mad_co_u64_u32 v[52:53], null, s16, v68, 0
	v_mad_co_u64_u32 v[54:55], null, s16, v69, 0
	;; [unrolled: 1-line block ×4, first 2 shown]
	v_lshlrev_b64_e32 v[42:43], 4, v[64:65]
	v_or_b32_e32 v70, 64, v78
	s_delay_alu instid0(VALU_DEP_1)
	v_mad_co_u64_u32 v[56:57], null, s16, v70, 0
	s_wait_dscnt 0x0
	v_add_f64_e64 v[2:3], v[24:25], -v[2:3]
	v_add_f64_e64 v[8:9], v[6:7], -v[9:10]
	;; [unrolled: 1-line block ×8, first 2 shown]
	v_fma_f64 v[24:25], v[24:25], 2.0, -v[2:3]
	v_add_f64_e64 v[32:33], v[2:3], -v[8:9]
	v_fma_f64 v[6:7], v[6:7], 2.0, -v[8:9]
	v_add_f64_e64 v[34:35], v[26:27], -v[28:29]
	v_fma_f64 v[8:9], v[46:47], 2.0, -v[28:29]
	v_fma_f64 v[15:16], v[16:17], 2.0, -v[20:21]
	v_add_f64_e32 v[36:37], v[20:21], v[4:5]
	v_fma_f64 v[4:5], v[11:12], 2.0, -v[4:5]
	v_fma_f64 v[18:19], v[18:19], 2.0, -v[22:23]
	v_add_f64_e32 v[38:39], v[13:14], v[22:23]
	v_fma_f64 v[0:1], v[0:1], 2.0, -v[13:14]
	v_fma_f64 v[22:23], v[30:31], 2.0, -v[26:27]
	;; [unrolled: 1-line block ×3, first 2 shown]
	v_mad_co_u64_u32 v[2:3], null, s2, v66, 0
	s_wait_alu 0xfffe
	s_mov_b32 s2, s0
	v_fma_f64 v[26:27], v[26:27], 2.0, -v[34:35]
	v_fma_f64 v[10:11], v[20:21], 2.0, -v[36:37]
	v_add_f64_e64 v[30:31], v[24:25], -v[18:19]
	v_fma_f64 v[20:21], v[13:14], 2.0, -v[38:39]
	v_add_f64_e64 v[40:41], v[0:1], -v[6:7]
	v_add_f64_e64 v[4:5], v[22:23], -v[4:5]
	;; [unrolled: 1-line block ×3, first 2 shown]
	v_mul_lo_u32 v19, s3, v66
	s_mov_b32 s3, 0xbfe6a09e
	v_fma_f64 v[8:9], v[34:35], s[0:1], v[32:33]
	v_fma_f64 v[50:51], v[36:37], s[0:1], v[38:39]
	v_or_b32_e32 v66, 16, v78
	v_mad_co_u64_u32 v[17:18], null, s16, v78, 0
	v_add3_u32 v3, v3, v62, v19
	s_delay_alu instid0(VALU_DEP_3) | instskip(SKIP_1) | instid1(VALU_DEP_4)
	v_mad_co_u64_u32 v[48:49], null, s16, v66, 0
	v_mad_co_u64_u32 v[62:63], null, s16, v73, 0
	v_mov_b32_e32 v14, v18
	s_delay_alu instid0(VALU_DEP_4) | instskip(NEXT) | instid1(VALU_DEP_4)
	v_lshlrev_b64_e32 v[64:65], 4, v[2:3]
	v_dual_mov_b32 v3, v53 :: v_dual_mov_b32 v2, v49
	v_mov_b32_e32 v49, v61
	s_delay_alu instid0(VALU_DEP_4) | instskip(SKIP_1) | instid1(VALU_DEP_4)
	v_mad_co_u64_u32 v[18:19], null, s17, v78, v[14:15]
	v_dual_mov_b32 v14, v55 :: v_dual_mov_b32 v53, v63
	v_mad_co_u64_u32 v[66:67], null, s17, v66, v[2:3]
	v_mov_b32_e32 v19, v59
	s_wait_alu 0xfffe
	v_fma_f64 v[12:13], v[26:27], s[2:3], v[28:29]
	v_fma_f64 v[24:25], v[24:25], 2.0, -v[30:31]
	v_fma_f64 v[44:45], v[10:11], s[2:3], v[20:21]
	v_fma_f64 v[46:47], v[0:1], 2.0, -v[40:41]
	v_fma_f64 v[22:23], v[22:23], 2.0, -v[4:5]
	;; [unrolled: 1-line block ×3, first 2 shown]
	v_mad_co_u64_u32 v[67:68], null, s17, v68, v[3:4]
	v_mad_co_u64_u32 v[68:69], null, s17, v69, v[14:15]
	v_add_f64_e64 v[6:7], v[30:31], -v[6:7]
	v_fma_f64 v[2:3], v[36:37], s[2:3], v[8:9]
	v_add_f64_e32 v[4:5], v[40:41], v[4:5]
	s_delay_alu instid0(VALU_DEP_4)
	v_dual_mov_b32 v16, v57 :: v_dual_mov_b32 v55, v68
	v_fma_f64 v[10:11], v[10:11], s[2:3], v[12:13]
	v_fma_f64 v[8:9], v[26:27], s[0:1], v[44:45]
	v_mad_co_u64_u32 v[26:27], null, s17, v71, v[19:20]
	v_add_f64_e64 v[14:15], v[24:25], -v[22:23]
	v_add_f64_e64 v[12:13], v[46:47], -v[0:1]
	v_fma_f64 v[0:1], v[34:35], s[0:1], v[50:51]
	v_mad_co_u64_u32 v[34:35], null, s17, v72, v[49:50]
	v_mov_b32_e32 v49, v66
	v_mad_co_u64_u32 v[22:23], null, s17, v70, v[16:17]
	v_add_co_u32 v16, vcc_lo, s6, v64
	s_wait_alu 0xfffd
	v_add_co_ci_u32_e32 v19, vcc_lo, s7, v65, vcc_lo
	v_mov_b32_e32 v59, v26
	s_delay_alu instid0(VALU_DEP_3)
	v_add_co_u32 v64, vcc_lo, v16, v42
	v_mov_b32_e32 v57, v22
	v_fma_f64 v[22:23], v[30:31], 2.0, -v[6:7]
	v_mad_co_u64_u32 v[35:36], null, s17, v73, v[53:54]
	s_wait_alu 0xfffd
	v_add_co_ci_u32_e32 v65, vcc_lo, v19, v43, vcc_lo
	v_lshlrev_b64_e32 v[36:37], 4, v[17:18]
	v_fma_f64 v[18:19], v[32:33], 2.0, -v[2:3]
	v_mov_b32_e32 v53, v67
	v_mov_b32_e32 v61, v34
	;; [unrolled: 1-line block ×3, first 2 shown]
	v_lshlrev_b64_e32 v[34:35], 4, v[48:49]
	v_add_co_u32 v36, vcc_lo, v64, v36
	v_fma_f64 v[26:27], v[28:29], 2.0, -v[10:11]
	v_lshlrev_b64_e32 v[42:43], 4, v[52:53]
	s_wait_alu 0xfffd
	v_add_co_ci_u32_e32 v37, vcc_lo, v65, v37, vcc_lo
	v_lshlrev_b64_e32 v[44:45], 4, v[54:55]
	v_add_co_u32 v34, vcc_lo, v64, v34
	s_wait_alu 0xfffd
	v_add_co_ci_u32_e32 v35, vcc_lo, v65, v35, vcc_lo
	v_fma_f64 v[30:31], v[24:25], 2.0, -v[14:15]
	v_fma_f64 v[28:29], v[46:47], 2.0, -v[12:13]
	;; [unrolled: 1-line block ×5, first 2 shown]
	v_lshlrev_b64_e32 v[48:49], 4, v[56:57]
	v_add_co_u32 v40, vcc_lo, v64, v42
	s_wait_alu 0xfffd
	v_add_co_ci_u32_e32 v41, vcc_lo, v65, v43, vcc_lo
	v_lshlrev_b64_e32 v[50:51], 4, v[58:59]
	v_add_co_u32 v42, vcc_lo, v64, v44
	s_wait_alu 0xfffd
	v_add_co_ci_u32_e32 v43, vcc_lo, v65, v45, vcc_lo
	;; [unrolled: 4-line block ×4, first 2 shown]
	v_add_co_u32 v32, vcc_lo, v64, v32
	s_wait_alu 0xfffd
	v_add_co_ci_u32_e32 v33, vcc_lo, v65, v33, vcc_lo
	v_add_co_u32 v38, vcc_lo, v64, v38
	s_wait_alu 0xfffd
	v_add_co_ci_u32_e32 v39, vcc_lo, v65, v39, vcc_lo
	s_clause 0x7
	global_store_b128 v[36:37], v[28:31], off
	global_store_b128 v[34:35], v[24:27], off
	;; [unrolled: 1-line block ×8, first 2 shown]
.LBB0_19:
	s_nop 0
	s_sendmsg sendmsg(MSG_DEALLOC_VGPRS)
	s_endpgm
	.section	.rodata,"a",@progbits
	.p2align	6, 0x0
	.amdhsa_kernel fft_rtc_back_len128_factors_16_8_wgs_256_tpt_16_halfLds_dp_op_CI_CI_sbrr_dirReg
		.amdhsa_group_segment_fixed_size 0
		.amdhsa_private_segment_fixed_size 0
		.amdhsa_kernarg_size 104
		.amdhsa_user_sgpr_count 2
		.amdhsa_user_sgpr_dispatch_ptr 0
		.amdhsa_user_sgpr_queue_ptr 0
		.amdhsa_user_sgpr_kernarg_segment_ptr 1
		.amdhsa_user_sgpr_dispatch_id 0
		.amdhsa_user_sgpr_private_segment_size 0
		.amdhsa_wavefront_size32 1
		.amdhsa_uses_dynamic_stack 0
		.amdhsa_enable_private_segment 0
		.amdhsa_system_sgpr_workgroup_id_x 1
		.amdhsa_system_sgpr_workgroup_id_y 0
		.amdhsa_system_sgpr_workgroup_id_z 0
		.amdhsa_system_sgpr_workgroup_info 0
		.amdhsa_system_vgpr_workitem_id 0
		.amdhsa_next_free_vgpr 99
		.amdhsa_next_free_sgpr 43
		.amdhsa_reserve_vcc 1
		.amdhsa_float_round_mode_32 0
		.amdhsa_float_round_mode_16_64 0
		.amdhsa_float_denorm_mode_32 3
		.amdhsa_float_denorm_mode_16_64 3
		.amdhsa_fp16_overflow 0
		.amdhsa_workgroup_processor_mode 1
		.amdhsa_memory_ordered 1
		.amdhsa_forward_progress 0
		.amdhsa_round_robin_scheduling 0
		.amdhsa_exception_fp_ieee_invalid_op 0
		.amdhsa_exception_fp_denorm_src 0
		.amdhsa_exception_fp_ieee_div_zero 0
		.amdhsa_exception_fp_ieee_overflow 0
		.amdhsa_exception_fp_ieee_underflow 0
		.amdhsa_exception_fp_ieee_inexact 0
		.amdhsa_exception_int_div_zero 0
	.end_amdhsa_kernel
	.text
.Lfunc_end0:
	.size	fft_rtc_back_len128_factors_16_8_wgs_256_tpt_16_halfLds_dp_op_CI_CI_sbrr_dirReg, .Lfunc_end0-fft_rtc_back_len128_factors_16_8_wgs_256_tpt_16_halfLds_dp_op_CI_CI_sbrr_dirReg
                                        ; -- End function
	.section	.AMDGPU.csdata,"",@progbits
; Kernel info:
; codeLenInByte = 5724
; NumSgprs: 45
; NumVgprs: 99
; ScratchSize: 0
; MemoryBound: 1
; FloatMode: 240
; IeeeMode: 1
; LDSByteSize: 0 bytes/workgroup (compile time only)
; SGPRBlocks: 5
; VGPRBlocks: 12
; NumSGPRsForWavesPerEU: 45
; NumVGPRsForWavesPerEU: 99
; Occupancy: 12
; WaveLimiterHint : 1
; COMPUTE_PGM_RSRC2:SCRATCH_EN: 0
; COMPUTE_PGM_RSRC2:USER_SGPR: 2
; COMPUTE_PGM_RSRC2:TRAP_HANDLER: 0
; COMPUTE_PGM_RSRC2:TGID_X_EN: 1
; COMPUTE_PGM_RSRC2:TGID_Y_EN: 0
; COMPUTE_PGM_RSRC2:TGID_Z_EN: 0
; COMPUTE_PGM_RSRC2:TIDIG_COMP_CNT: 0
	.text
	.p2alignl 7, 3214868480
	.fill 96, 4, 3214868480
	.type	__hip_cuid_bb5aa41691a2272f,@object ; @__hip_cuid_bb5aa41691a2272f
	.section	.bss,"aw",@nobits
	.globl	__hip_cuid_bb5aa41691a2272f
__hip_cuid_bb5aa41691a2272f:
	.byte	0                               ; 0x0
	.size	__hip_cuid_bb5aa41691a2272f, 1

	.ident	"AMD clang version 19.0.0git (https://github.com/RadeonOpenCompute/llvm-project roc-6.4.0 25133 c7fe45cf4b819c5991fe208aaa96edf142730f1d)"
	.section	".note.GNU-stack","",@progbits
	.addrsig
	.addrsig_sym __hip_cuid_bb5aa41691a2272f
	.amdgpu_metadata
---
amdhsa.kernels:
  - .args:
      - .actual_access:  read_only
        .address_space:  global
        .offset:         0
        .size:           8
        .value_kind:     global_buffer
      - .offset:         8
        .size:           8
        .value_kind:     by_value
      - .actual_access:  read_only
        .address_space:  global
        .offset:         16
        .size:           8
        .value_kind:     global_buffer
      - .actual_access:  read_only
        .address_space:  global
        .offset:         24
        .size:           8
        .value_kind:     global_buffer
      - .actual_access:  read_only
        .address_space:  global
        .offset:         32
        .size:           8
        .value_kind:     global_buffer
      - .offset:         40
        .size:           8
        .value_kind:     by_value
      - .actual_access:  read_only
        .address_space:  global
        .offset:         48
        .size:           8
        .value_kind:     global_buffer
      - .actual_access:  read_only
        .address_space:  global
        .offset:         56
        .size:           8
        .value_kind:     global_buffer
      - .offset:         64
        .size:           4
        .value_kind:     by_value
      - .actual_access:  read_only
        .address_space:  global
        .offset:         72
        .size:           8
        .value_kind:     global_buffer
      - .actual_access:  read_only
        .address_space:  global
        .offset:         80
        .size:           8
        .value_kind:     global_buffer
      - .actual_access:  read_only
        .address_space:  global
        .offset:         88
        .size:           8
        .value_kind:     global_buffer
      - .actual_access:  write_only
        .address_space:  global
        .offset:         96
        .size:           8
        .value_kind:     global_buffer
    .group_segment_fixed_size: 0
    .kernarg_segment_align: 8
    .kernarg_segment_size: 104
    .language:       OpenCL C
    .language_version:
      - 2
      - 0
    .max_flat_workgroup_size: 256
    .name:           fft_rtc_back_len128_factors_16_8_wgs_256_tpt_16_halfLds_dp_op_CI_CI_sbrr_dirReg
    .private_segment_fixed_size: 0
    .sgpr_count:     45
    .sgpr_spill_count: 0
    .symbol:         fft_rtc_back_len128_factors_16_8_wgs_256_tpt_16_halfLds_dp_op_CI_CI_sbrr_dirReg.kd
    .uniform_work_group_size: 1
    .uses_dynamic_stack: false
    .vgpr_count:     99
    .vgpr_spill_count: 0
    .wavefront_size: 32
    .workgroup_processor_mode: 1
amdhsa.target:   amdgcn-amd-amdhsa--gfx1201
amdhsa.version:
  - 1
  - 2
...

	.end_amdgpu_metadata
